;; amdgpu-corpus repo=ROCm/rocFFT kind=compiled arch=gfx906 opt=O3
	.text
	.amdgcn_target "amdgcn-amd-amdhsa--gfx906"
	.amdhsa_code_object_version 6
	.protected	fft_rtc_back_len900_factors_10_10_3_3_wgs_180_tpt_90_halfLds_half_ip_CI_unitstride_sbrr_C2R_dirReg ; -- Begin function fft_rtc_back_len900_factors_10_10_3_3_wgs_180_tpt_90_halfLds_half_ip_CI_unitstride_sbrr_C2R_dirReg
	.globl	fft_rtc_back_len900_factors_10_10_3_3_wgs_180_tpt_90_halfLds_half_ip_CI_unitstride_sbrr_C2R_dirReg
	.p2align	8
	.type	fft_rtc_back_len900_factors_10_10_3_3_wgs_180_tpt_90_halfLds_half_ip_CI_unitstride_sbrr_C2R_dirReg,@function
fft_rtc_back_len900_factors_10_10_3_3_wgs_180_tpt_90_halfLds_half_ip_CI_unitstride_sbrr_C2R_dirReg: ; @fft_rtc_back_len900_factors_10_10_3_3_wgs_180_tpt_90_halfLds_half_ip_CI_unitstride_sbrr_C2R_dirReg
; %bb.0:
	s_load_dwordx2 s[12:13], s[4:5], 0x50
	s_load_dwordx4 s[8:11], s[4:5], 0x0
	s_load_dwordx2 s[2:3], s[4:5], 0x18
	v_mul_u32_u24_e32 v1, 0x2d9, v0
	v_lshrrev_b32_e32 v9, 16, v1
	v_mov_b32_e32 v3, 0
	s_waitcnt lgkmcnt(0)
	v_cmp_lt_u64_e64 s[0:1], s[10:11], 2
	v_mov_b32_e32 v1, 0
	v_lshl_add_u32 v5, s6, 1, v9
	v_mov_b32_e32 v6, v3
	s_and_b64 vcc, exec, s[0:1]
	v_mov_b32_e32 v2, 0
	s_cbranch_vccnz .LBB0_8
; %bb.1:
	s_load_dwordx2 s[0:1], s[4:5], 0x10
	s_add_u32 s6, s2, 8
	s_addc_u32 s7, s3, 0
	v_mov_b32_e32 v1, 0
	v_mov_b32_e32 v2, 0
	s_waitcnt lgkmcnt(0)
	s_add_u32 s14, s0, 8
	s_addc_u32 s15, s1, 0
	s_mov_b64 s[16:17], 1
.LBB0_2:                                ; =>This Inner Loop Header: Depth=1
	s_load_dwordx2 s[18:19], s[14:15], 0x0
                                        ; implicit-def: $vgpr7_vgpr8
	s_waitcnt lgkmcnt(0)
	v_or_b32_e32 v4, s19, v6
	v_cmp_ne_u64_e32 vcc, 0, v[3:4]
	s_and_saveexec_b64 s[0:1], vcc
	s_xor_b64 s[20:21], exec, s[0:1]
	s_cbranch_execz .LBB0_4
; %bb.3:                                ;   in Loop: Header=BB0_2 Depth=1
	v_cvt_f32_u32_e32 v4, s18
	v_cvt_f32_u32_e32 v7, s19
	s_sub_u32 s0, 0, s18
	s_subb_u32 s1, 0, s19
	v_mac_f32_e32 v4, 0x4f800000, v7
	v_rcp_f32_e32 v4, v4
	v_mul_f32_e32 v4, 0x5f7ffffc, v4
	v_mul_f32_e32 v7, 0x2f800000, v4
	v_trunc_f32_e32 v7, v7
	v_mac_f32_e32 v4, 0xcf800000, v7
	v_cvt_u32_f32_e32 v7, v7
	v_cvt_u32_f32_e32 v4, v4
	v_mul_lo_u32 v8, s0, v7
	v_mul_hi_u32 v10, s0, v4
	v_mul_lo_u32 v12, s1, v4
	v_mul_lo_u32 v11, s0, v4
	v_add_u32_e32 v8, v10, v8
	v_add_u32_e32 v8, v8, v12
	v_mul_hi_u32 v10, v4, v11
	v_mul_lo_u32 v12, v4, v8
	v_mul_hi_u32 v14, v4, v8
	v_mul_hi_u32 v13, v7, v11
	v_mul_lo_u32 v11, v7, v11
	v_mul_hi_u32 v15, v7, v8
	v_add_co_u32_e32 v10, vcc, v10, v12
	v_addc_co_u32_e32 v12, vcc, 0, v14, vcc
	v_mul_lo_u32 v8, v7, v8
	v_add_co_u32_e32 v10, vcc, v10, v11
	v_addc_co_u32_e32 v10, vcc, v12, v13, vcc
	v_addc_co_u32_e32 v11, vcc, 0, v15, vcc
	v_add_co_u32_e32 v8, vcc, v10, v8
	v_addc_co_u32_e32 v10, vcc, 0, v11, vcc
	v_add_co_u32_e32 v4, vcc, v4, v8
	v_addc_co_u32_e32 v7, vcc, v7, v10, vcc
	v_mul_lo_u32 v8, s0, v7
	v_mul_hi_u32 v10, s0, v4
	v_mul_lo_u32 v11, s1, v4
	v_mul_lo_u32 v12, s0, v4
	v_add_u32_e32 v8, v10, v8
	v_add_u32_e32 v8, v8, v11
	v_mul_lo_u32 v13, v4, v8
	v_mul_hi_u32 v14, v4, v12
	v_mul_hi_u32 v15, v4, v8
	;; [unrolled: 1-line block ×3, first 2 shown]
	v_mul_lo_u32 v12, v7, v12
	v_mul_hi_u32 v10, v7, v8
	v_add_co_u32_e32 v13, vcc, v14, v13
	v_addc_co_u32_e32 v14, vcc, 0, v15, vcc
	v_mul_lo_u32 v8, v7, v8
	v_add_co_u32_e32 v12, vcc, v13, v12
	v_addc_co_u32_e32 v11, vcc, v14, v11, vcc
	v_addc_co_u32_e32 v10, vcc, 0, v10, vcc
	v_add_co_u32_e32 v8, vcc, v11, v8
	v_addc_co_u32_e32 v10, vcc, 0, v10, vcc
	v_add_co_u32_e32 v4, vcc, v4, v8
	v_addc_co_u32_e32 v10, vcc, v7, v10, vcc
	v_mad_u64_u32 v[7:8], s[0:1], v5, v10, 0
	v_mul_hi_u32 v11, v5, v4
	v_add_co_u32_e32 v12, vcc, v11, v7
	v_addc_co_u32_e32 v13, vcc, 0, v8, vcc
	v_mad_u64_u32 v[7:8], s[0:1], v6, v4, 0
	v_mad_u64_u32 v[10:11], s[0:1], v6, v10, 0
	v_add_co_u32_e32 v4, vcc, v12, v7
	v_addc_co_u32_e32 v4, vcc, v13, v8, vcc
	v_addc_co_u32_e32 v7, vcc, 0, v11, vcc
	v_add_co_u32_e32 v4, vcc, v4, v10
	v_addc_co_u32_e32 v10, vcc, 0, v7, vcc
	v_mul_lo_u32 v11, s19, v4
	v_mul_lo_u32 v12, s18, v10
	v_mad_u64_u32 v[7:8], s[0:1], s18, v4, 0
	v_add3_u32 v8, v8, v12, v11
	v_sub_u32_e32 v11, v6, v8
	v_mov_b32_e32 v12, s19
	v_sub_co_u32_e32 v7, vcc, v5, v7
	v_subb_co_u32_e64 v11, s[0:1], v11, v12, vcc
	v_subrev_co_u32_e64 v12, s[0:1], s18, v7
	v_subbrev_co_u32_e64 v11, s[0:1], 0, v11, s[0:1]
	v_cmp_le_u32_e64 s[0:1], s19, v11
	v_cndmask_b32_e64 v13, 0, -1, s[0:1]
	v_cmp_le_u32_e64 s[0:1], s18, v12
	v_cndmask_b32_e64 v12, 0, -1, s[0:1]
	v_cmp_eq_u32_e64 s[0:1], s19, v11
	v_cndmask_b32_e64 v11, v13, v12, s[0:1]
	v_add_co_u32_e64 v12, s[0:1], 2, v4
	v_addc_co_u32_e64 v13, s[0:1], 0, v10, s[0:1]
	v_add_co_u32_e64 v14, s[0:1], 1, v4
	v_addc_co_u32_e64 v15, s[0:1], 0, v10, s[0:1]
	v_subb_co_u32_e32 v8, vcc, v6, v8, vcc
	v_cmp_ne_u32_e64 s[0:1], 0, v11
	v_cmp_le_u32_e32 vcc, s19, v8
	v_cndmask_b32_e64 v11, v15, v13, s[0:1]
	v_cndmask_b32_e64 v13, 0, -1, vcc
	v_cmp_le_u32_e32 vcc, s18, v7
	v_cndmask_b32_e64 v7, 0, -1, vcc
	v_cmp_eq_u32_e32 vcc, s19, v8
	v_cndmask_b32_e32 v7, v13, v7, vcc
	v_cmp_ne_u32_e32 vcc, 0, v7
	v_cndmask_b32_e64 v7, v14, v12, s[0:1]
	v_cndmask_b32_e32 v8, v10, v11, vcc
	v_cndmask_b32_e32 v7, v4, v7, vcc
.LBB0_4:                                ;   in Loop: Header=BB0_2 Depth=1
	s_andn2_saveexec_b64 s[0:1], s[20:21]
	s_cbranch_execz .LBB0_6
; %bb.5:                                ;   in Loop: Header=BB0_2 Depth=1
	v_cvt_f32_u32_e32 v4, s18
	s_sub_i32 s20, 0, s18
	v_rcp_iflag_f32_e32 v4, v4
	v_mul_f32_e32 v4, 0x4f7ffffe, v4
	v_cvt_u32_f32_e32 v4, v4
	v_mul_lo_u32 v7, s20, v4
	v_mul_hi_u32 v7, v4, v7
	v_add_u32_e32 v4, v4, v7
	v_mul_hi_u32 v4, v5, v4
	v_mul_lo_u32 v7, v4, s18
	v_add_u32_e32 v8, 1, v4
	v_sub_u32_e32 v7, v5, v7
	v_subrev_u32_e32 v10, s18, v7
	v_cmp_le_u32_e32 vcc, s18, v7
	v_cndmask_b32_e32 v7, v7, v10, vcc
	v_cndmask_b32_e32 v4, v4, v8, vcc
	v_add_u32_e32 v8, 1, v4
	v_cmp_le_u32_e32 vcc, s18, v7
	v_cndmask_b32_e32 v7, v4, v8, vcc
	v_mov_b32_e32 v8, v3
.LBB0_6:                                ;   in Loop: Header=BB0_2 Depth=1
	s_or_b64 exec, exec, s[0:1]
	v_mul_lo_u32 v4, v8, s18
	v_mul_lo_u32 v12, v7, s19
	v_mad_u64_u32 v[10:11], s[0:1], v7, s18, 0
	s_load_dwordx2 s[0:1], s[6:7], 0x0
	s_add_u32 s16, s16, 1
	v_add3_u32 v4, v11, v12, v4
	v_sub_co_u32_e32 v5, vcc, v5, v10
	v_subb_co_u32_e32 v4, vcc, v6, v4, vcc
	s_waitcnt lgkmcnt(0)
	v_mul_lo_u32 v4, s0, v4
	v_mul_lo_u32 v6, s1, v5
	v_mad_u64_u32 v[1:2], s[0:1], s0, v5, v[1:2]
	s_addc_u32 s17, s17, 0
	s_add_u32 s6, s6, 8
	v_add3_u32 v2, v6, v2, v4
	v_mov_b32_e32 v4, s10
	v_mov_b32_e32 v5, s11
	s_addc_u32 s7, s7, 0
	v_cmp_ge_u64_e32 vcc, s[16:17], v[4:5]
	s_add_u32 s14, s14, 8
	s_addc_u32 s15, s15, 0
	s_cbranch_vccnz .LBB0_9
; %bb.7:                                ;   in Loop: Header=BB0_2 Depth=1
	v_mov_b32_e32 v5, v7
	v_mov_b32_e32 v6, v8
	s_branch .LBB0_2
.LBB0_8:
	v_mov_b32_e32 v8, v6
	v_mov_b32_e32 v7, v5
.LBB0_9:
	s_lshl_b64 s[0:1], s[10:11], 3
	s_add_u32 s0, s2, s0
	s_addc_u32 s1, s3, s1
	s_load_dwordx2 s[2:3], s[0:1], 0x0
	s_load_dwordx2 s[6:7], s[4:5], 0x20
	v_and_b32_e32 v5, 1, v9
	v_mov_b32_e32 v6, 0x385
	v_cmp_eq_u32_e32 vcc, 1, v5
	s_waitcnt lgkmcnt(0)
	v_mul_lo_u32 v3, s2, v8
	v_mul_lo_u32 v4, s3, v7
	v_mad_u64_u32 v[1:2], s[0:1], s2, v7, v[1:2]
	s_mov_b32 s0, 0x2d82d83
	v_cndmask_b32_e32 v6, 0, v6, vcc
	v_add3_u32 v2, v4, v2, v3
	v_mul_hi_u32 v3, v0, s0
	v_cmp_gt_u64_e32 vcc, s[6:7], v[7:8]
	v_lshlrev_b32_e32 v15, 2, v6
	v_mul_u32_u24_e32 v3, 0x5a, v3
	v_sub_u32_e32 v0, v0, v3
	v_lshlrev_b64 v[2:3], 2, v[1:2]
	s_and_saveexec_b64 s[2:3], vcc
	s_cbranch_execz .LBB0_13
; %bb.10:
	v_mov_b32_e32 v1, 0
	v_mov_b32_e32 v5, s13
	v_add_co_u32_e64 v4, s[0:1], s12, v2
	v_lshlrev_b64 v[7:8], 2, v[0:1]
	v_addc_co_u32_e64 v5, s[0:1], v5, v3, s[0:1]
	v_add_co_u32_e64 v7, s[0:1], v4, v7
	v_addc_co_u32_e64 v8, s[0:1], v5, v8, s[0:1]
	global_load_dword v9, v[7:8], off
	global_load_dword v10, v[7:8], off offset:360
	global_load_dword v11, v[7:8], off offset:720
	;; [unrolled: 1-line block ×9, first 2 shown]
	v_lshlrev_b32_e32 v1, 2, v0
	s_movk_i32 s0, 0x59
	v_add3_u32 v1, 0, v15, v1
	v_cmp_eq_u32_e64 s[0:1], s0, v0
	v_add_u32_e32 v7, 0x200, v1
	v_add_u32_e32 v8, 0x400, v1
	;; [unrolled: 1-line block ×4, first 2 shown]
	s_waitcnt vmcnt(8)
	ds_write2_b32 v1, v9, v10 offset1:90
	s_waitcnt vmcnt(6)
	ds_write2_b32 v7, v11, v12 offset0:52 offset1:142
	s_waitcnt vmcnt(4)
	ds_write2_b32 v8, v13, v14 offset0:104 offset1:194
	;; [unrolled: 2-line block ×4, first 2 shown]
	s_and_saveexec_b64 s[4:5], s[0:1]
	s_cbranch_execz .LBB0_12
; %bb.11:
	global_load_dword v0, v[4:5], off offset:3600
	s_waitcnt vmcnt(0)
	ds_write_b32 v1, v0 offset:3244
	v_mov_b32_e32 v0, 0x59
.LBB0_12:
	s_or_b64 exec, exec, s[4:5]
.LBB0_13:
	s_or_b64 exec, exec, s[2:3]
	v_lshl_add_u32 v14, v6, 2, 0
	v_lshlrev_b32_e32 v1, 2, v0
	v_add_u32_e32 v16, v14, v1
	s_waitcnt lgkmcnt(0)
	s_barrier
	v_sub_u32_e32 v6, v14, v1
	ds_read_u16 v9, v16
	ds_read_u16 v10, v6 offset:3600
	v_cmp_ne_u32_e64 s[0:1], 0, v0
                                        ; implicit-def: $vgpr4_vgpr5
	s_waitcnt lgkmcnt(0)
	v_add_f16_e32 v7, v10, v9
	v_sub_f16_e32 v8, v9, v10
	s_and_saveexec_b64 s[2:3], s[0:1]
	s_xor_b64 s[2:3], exec, s[2:3]
	s_cbranch_execz .LBB0_15
; %bb.14:
	v_mov_b32_e32 v1, 0
	v_lshlrev_b64 v[4:5], 2, v[0:1]
	v_mov_b32_e32 v7, s9
	v_add_co_u32_e64 v4, s[0:1], s8, v4
	v_addc_co_u32_e64 v5, s[0:1], v7, v5, s[0:1]
	global_load_dword v4, v[4:5], off offset:3560
	ds_read_u16 v5, v6 offset:3602
	ds_read_u16 v7, v16 offset:2
	v_add_f16_e32 v8, v10, v9
	v_sub_f16_e32 v9, v9, v10
	s_waitcnt lgkmcnt(0)
	v_add_f16_e32 v10, v5, v7
	v_sub_f16_e32 v5, v7, v5
	s_waitcnt vmcnt(0)
	v_lshrrev_b32_e32 v7, 16, v4
	v_fma_f16 v11, v9, v7, v8
	v_fma_f16 v12, v10, v7, v5
	v_fma_f16 v13, -v9, v7, v8
	v_fma_f16 v5, v10, v7, -v5
	v_fma_f16 v7, -v4, v10, v11
	v_fma_f16 v8, v9, v4, v12
	v_fma_f16 v10, v4, v10, v13
	v_fma_f16 v4, v9, v4, v5
	v_pack_b32_f16 v4, v10, v4
	ds_write_b32 v6, v4 offset:3600
	v_mov_b32_e32 v5, v1
	v_mov_b32_e32 v4, v0
.LBB0_15:
	s_andn2_saveexec_b64 s[0:1], s[2:3]
	s_cbranch_execz .LBB0_17
; %bb.16:
	ds_read_b32 v1, v14 offset:1800
	s_mov_b32 s2, 0xc0004000
	v_mov_b32_e32 v4, 0
	v_mov_b32_e32 v5, 0
	s_waitcnt lgkmcnt(0)
	v_pk_mul_f16 v1, v1, s2
	ds_write_b32 v14, v1 offset:1800
.LBB0_17:
	s_or_b64 exec, exec, s[0:1]
	s_add_u32 s0, s8, 0xde8
	v_lshlrev_b64 v[4:5], 2, v[4:5]
	s_addc_u32 s1, s9, 0
	v_mov_b32_e32 v1, s1
	v_add_co_u32_e64 v4, s[0:1], s0, v4
	v_addc_co_u32_e64 v5, s[0:1], v1, v5, s[0:1]
	global_load_dword v1, v[4:5], off offset:360
	global_load_dword v9, v[4:5], off offset:720
	;; [unrolled: 1-line block ×4, first 2 shown]
	s_mov_b32 s0, 0x5040100
	v_perm_b32 v4, v8, v7, s0
	ds_write_b32 v16, v4
	ds_read_b32 v4, v16 offset:360
	ds_read_b32 v5, v6 offset:3240
	s_mov_b32 s1, 0xbb9c
	s_movk_i32 s4, 0x3b9c
	s_mov_b32 s2, 0xb8b4
	s_movk_i32 s0, 0x38b4
	s_waitcnt lgkmcnt(0)
	v_add_f16_e32 v7, v4, v5
	v_add_f16_sdwa v8, v5, v4 dst_sel:DWORD dst_unused:UNUSED_PAD src0_sel:WORD_1 src1_sel:WORD_1
	v_sub_f16_e32 v12, v4, v5
	v_sub_f16_sdwa v4, v4, v5 dst_sel:DWORD dst_unused:UNUSED_PAD src0_sel:WORD_1 src1_sel:WORD_1
	s_movk_i32 s3, 0x34f2
	s_movk_i32 s7, 0x3a79
	s_mov_b32 s5, 0xb4f2
	s_mov_b32 s6, 0xba79
	s_movk_i32 s10, 0xcd
	s_waitcnt vmcnt(3)
	v_lshrrev_b32_e32 v5, 16, v1
	v_fma_f16 v13, v12, v5, v7
	v_fma_f16 v17, v8, v5, v4
	v_fma_f16 v7, -v12, v5, v7
	v_fma_f16 v4, v8, v5, -v4
	v_fma_f16 v5, -v1, v8, v13
	v_fma_f16 v13, v12, v1, v17
	v_fma_f16 v7, v1, v8, v7
	;; [unrolled: 1-line block ×3, first 2 shown]
	v_pack_b32_f16 v4, v5, v13
	v_pack_b32_f16 v1, v7, v1
	ds_write_b32 v16, v4 offset:360
	ds_write_b32 v6, v1 offset:3240
	ds_read_b32 v1, v16 offset:720
	ds_read_b32 v4, v6 offset:2880
	s_waitcnt vmcnt(2)
	v_lshrrev_b32_e32 v5, 16, v9
	v_lshl_add_u32 v17, v0, 2, 0
	s_waitcnt lgkmcnt(0)
	v_add_f16_e32 v7, v1, v4
	v_add_f16_sdwa v8, v4, v1 dst_sel:DWORD dst_unused:UNUSED_PAD src0_sel:WORD_1 src1_sel:WORD_1
	v_sub_f16_e32 v12, v1, v4
	v_sub_f16_sdwa v1, v1, v4 dst_sel:DWORD dst_unused:UNUSED_PAD src0_sel:WORD_1 src1_sel:WORD_1
	v_fma_f16 v4, v12, v5, v7
	v_fma_f16 v13, v8, v5, v1
	v_fma_f16 v7, -v12, v5, v7
	v_fma_f16 v1, v8, v5, -v1
	v_fma_f16 v4, -v9, v8, v4
	v_fma_f16 v5, v12, v9, v13
	v_fma_f16 v7, v9, v8, v7
	;; [unrolled: 1-line block ×3, first 2 shown]
	v_pack_b32_f16 v4, v4, v5
	v_pack_b32_f16 v1, v7, v1
	ds_write_b32 v16, v4 offset:720
	ds_write_b32 v6, v1 offset:2880
	ds_read_b32 v4, v16 offset:1080
	ds_read_b32 v5, v6 offset:2520
	s_waitcnt vmcnt(1)
	v_lshrrev_b32_e32 v7, 16, v10
	v_add_u32_e32 v1, v17, v15
	v_add_u32_e32 v22, 0x800, v1
	v_mad_u32_u24 v17, v0, 36, v17
	s_waitcnt lgkmcnt(0)
	v_add_f16_e32 v8, v4, v5
	v_add_f16_sdwa v9, v5, v4 dst_sel:DWORD dst_unused:UNUSED_PAD src0_sel:WORD_1 src1_sel:WORD_1
	v_sub_f16_e32 v12, v4, v5
	v_sub_f16_sdwa v4, v4, v5 dst_sel:DWORD dst_unused:UNUSED_PAD src0_sel:WORD_1 src1_sel:WORD_1
	v_fma_f16 v5, v12, v7, v8
	v_fma_f16 v13, v9, v7, v4
	v_fma_f16 v8, -v12, v7, v8
	v_fma_f16 v4, v9, v7, -v4
	v_fma_f16 v5, -v10, v9, v5
	v_fma_f16 v7, v12, v10, v13
	v_fma_f16 v8, v10, v9, v8
	v_fma_f16 v4, v12, v10, v4
	v_pack_b32_f16 v5, v5, v7
	v_pack_b32_f16 v4, v8, v4
	ds_write_b32 v16, v5 offset:1080
	ds_write_b32 v6, v4 offset:2520
	ds_read_b32 v7, v16 offset:1440
	ds_read_b32 v8, v6 offset:2160
	s_waitcnt vmcnt(0)
	v_lshrrev_b32_e32 v9, 16, v11
	v_add_u32_e32 v4, 0x400, v1
	v_add_u32_e32 v5, 0x600, v1
	s_waitcnt lgkmcnt(0)
	v_add_f16_e32 v10, v7, v8
	v_add_f16_sdwa v12, v8, v7 dst_sel:DWORD dst_unused:UNUSED_PAD src0_sel:WORD_1 src1_sel:WORD_1
	v_sub_f16_e32 v13, v7, v8
	v_sub_f16_sdwa v7, v7, v8 dst_sel:DWORD dst_unused:UNUSED_PAD src0_sel:WORD_1 src1_sel:WORD_1
	v_fma_f16 v8, v13, v9, v10
	v_fma_f16 v18, v12, v9, v7
	v_fma_f16 v10, -v13, v9, v10
	v_fma_f16 v7, v12, v9, -v7
	v_fma_f16 v8, -v11, v12, v8
	v_fma_f16 v9, v13, v11, v18
	v_fma_f16 v10, v11, v12, v10
	;; [unrolled: 1-line block ×3, first 2 shown]
	v_pack_b32_f16 v8, v8, v9
	v_pack_b32_f16 v7, v10, v7
	ds_write_b32 v16, v8 offset:1440
	ds_write_b32 v6, v7 offset:2160
	s_waitcnt lgkmcnt(0)
	s_barrier
	s_barrier
	ds_read2_b32 v[6:7], v1 offset0:90 offset1:180
	ds_read2_b32 v[8:9], v5 offset0:66 offset1:156
	;; [unrolled: 1-line block ×4, first 2 shown]
	ds_read_b32 v18, v1 offset:3240
	ds_read_b32 v19, v16
	s_waitcnt lgkmcnt(0)
	v_sub_f16_e32 v20, v11, v9
	v_sub_f16_e32 v21, v7, v13
	v_sub_f16_sdwa v23, v7, v13 dst_sel:DWORD dst_unused:UNUSED_PAD src0_sel:WORD_1 src1_sel:WORD_1
	v_sub_f16_sdwa v24, v11, v9 dst_sel:DWORD dst_unused:UNUSED_PAD src0_sel:WORD_1 src1_sel:WORD_1
	v_sub_f16_e32 v25, v18, v10
	v_sub_f16_e32 v26, v12, v8
	v_pk_add_f16 v27, v19, v7
	v_pk_add_f16 v28, v6, v12
	v_add_f16_e32 v20, v21, v20
	v_add_f16_e32 v21, v23, v24
	;; [unrolled: 1-line block ×3, first 2 shown]
	v_pk_add_f16 v24, v27, v13
	v_pk_add_f16 v25, v28, v8
	;; [unrolled: 1-line block ×3, first 2 shown]
	v_add_f16_e32 v27, v8, v10
	v_add_f16_e32 v39, v12, v18
	v_pk_add_f16 v25, v25, v10
	v_add_f16_e32 v29, v13, v9
	v_sub_f16_sdwa v30, v13, v9 dst_sel:DWORD dst_unused:UNUSED_PAD src0_sel:WORD_1 src1_sel:WORD_1
	v_sub_f16_e32 v31, v9, v11
	v_add_f16_sdwa v32, v13, v9 dst_sel:DWORD dst_unused:UNUSED_PAD src0_sel:WORD_1 src1_sel:WORD_1
	v_sub_f16_e32 v26, v13, v9
	v_sub_f16_sdwa v9, v9, v11 dst_sel:DWORD dst_unused:UNUSED_PAD src0_sel:WORD_1 src1_sel:WORD_1
	v_sub_f16_sdwa v28, v8, v10 dst_sel:DWORD dst_unused:UNUSED_PAD src0_sel:WORD_1 src1_sel:WORD_1
	v_sub_f16_e32 v33, v8, v12
	v_add_f16_sdwa v34, v8, v10 dst_sel:DWORD dst_unused:UNUSED_PAD src0_sel:WORD_1 src1_sel:WORD_1
	v_sub_f16_e32 v35, v8, v10
	v_sub_f16_sdwa v36, v12, v8 dst_sel:DWORD dst_unused:UNUSED_PAD src0_sel:WORD_1 src1_sel:WORD_1
	v_sub_f16_sdwa v8, v8, v12 dst_sel:DWORD dst_unused:UNUSED_PAD src0_sel:WORD_1 src1_sel:WORD_1
	v_sub_f16_e32 v37, v13, v7
	v_sub_f16_sdwa v13, v13, v7 dst_sel:DWORD dst_unused:UNUSED_PAD src0_sel:WORD_1 src1_sel:WORD_1
	v_sub_f16_sdwa v38, v12, v18 dst_sel:DWORD dst_unused:UNUSED_PAD src0_sel:WORD_1 src1_sel:WORD_1
	v_sub_f16_e32 v40, v12, v18
	v_add_f16_sdwa v12, v12, v18 dst_sel:DWORD dst_unused:UNUSED_PAD src0_sel:WORD_1 src1_sel:WORD_1
	v_pk_add_f16 v24, v24, v11
	v_sub_f16_sdwa v41, v7, v11 dst_sel:DWORD dst_unused:UNUSED_PAD src0_sel:WORD_1 src1_sel:WORD_1
	v_add_f16_e32 v42, v7, v11
	v_sub_f16_e32 v43, v7, v11
	v_add_f16_sdwa v7, v7, v11 dst_sel:DWORD dst_unused:UNUSED_PAD src0_sel:WORD_1 src1_sel:WORD_1
	v_sub_f16_e32 v11, v10, v18
	v_sub_f16_sdwa v44, v18, v10 dst_sel:DWORD dst_unused:UNUSED_PAD src0_sel:WORD_1 src1_sel:WORD_1
	v_sub_f16_sdwa v10, v10, v18 dst_sel:DWORD dst_unused:UNUSED_PAD src0_sel:WORD_1 src1_sel:WORD_1
	v_pk_add_f16 v18, v25, v18
	v_fma_f16 v25, v27, -0.5, v6
	v_fma_f16 v27, v39, -0.5, v6
	v_lshrrev_b32_e32 v6, 16, v6
	v_lshrrev_b32_e32 v46, 16, v19
	v_fma_f16 v34, v34, -0.5, v6
	v_fma_f16 v7, v7, -0.5, v46
	v_add_f16_e32 v36, v36, v44
	v_fma_f16 v44, v40, s4, v34
	v_add_f16_e32 v9, v13, v9
	v_fma_f16 v13, v26, s1, v7
	v_fma_f16 v7, v26, s4, v7
	v_fma_f16 v6, v12, -0.5, v6
	v_fma_f16 v39, v38, s1, v25
	v_fma_f16 v44, v35, s0, v44
	;; [unrolled: 1-line block ×4, first 2 shown]
	v_add_f16_e32 v8, v8, v10
	v_fma_f16 v10, v35, s1, v6
	v_fma_f16 v39, v28, s2, v39
	;; [unrolled: 1-line block ×5, first 2 shown]
	v_add_f16_e32 v9, v33, v11
	v_fma_f16 v11, v28, s4, v27
	v_fma_f16 v10, v40, s0, v10
	;; [unrolled: 1-line block ×4, first 2 shown]
	v_mul_f16_e32 v45, 0xb8b4, v44
	v_fma_f16 v29, v29, -0.5, v19
	v_fma_f16 v19, v42, -0.5, v19
	v_fma_f16 v11, v38, s2, v11
	v_fma_f16 v27, v28, s1, v27
	;; [unrolled: 1-line block ×5, first 2 shown]
	v_mul_f16_e32 v39, 0x38b4, v39
	v_fma_f16 v32, v32, -0.5, v46
	v_add_f16_e32 v31, v37, v31
	v_fma_f16 v37, v30, s4, v19
	v_fma_f16 v19, v30, s1, v19
	v_fma_f16 v11, v9, s3, v11
	v_fma_f16 v27, v38, s0, v27
	v_fma_f16 v6, v8, s3, v6
	v_mul_f16_e32 v8, 0xbb9c, v10
	v_mul_f16_e32 v10, 0x34f2, v10
	v_fma_f16 v39, v44, s7, v39
	v_fma_f16 v44, v41, s1, v29
	;; [unrolled: 1-line block ×7, first 2 shown]
	v_mul_f16_e32 v11, 0xbb9c, v6
	v_mul_f16_e32 v6, 0xb4f2, v6
	v_fma_f16 v44, v30, s2, v44
	v_fma_f16 v47, v26, s0, v47
	;; [unrolled: 1-line block ×9, first 2 shown]
	v_add_f16_e32 v9, v19, v11
	v_add_f16_e32 v12, v7, v6
	;; [unrolled: 1-line block ×4, first 2 shown]
	v_pack_b32_f16 v9, v9, v12
	v_add_f16_e32 v12, v37, v8
	v_add_f16_e32 v27, v13, v10
	v_pack_b32_f16 v48, v48, v49
	v_add_u32_e32 v49, v17, v15
	v_pack_b32_f16 v12, v12, v27
	s_barrier
	ds_write2_b32 v49, v12, v9 offset0:2 offset1:3
	v_fma_f16 v12, v43, s1, v32
	v_fma_f16 v9, v41, s4, v29
	;; [unrolled: 1-line block ×12, first 2 shown]
	v_mul_f16_e32 v23, 0xb8b4, v21
	v_mul_f16_e32 v21, 0xba79, v21
	v_fma_f16 v23, v20, s6, v23
	v_fma_f16 v20, v20, s0, v21
	v_sub_f16_e32 v11, v19, v11
	v_add_f16_e32 v19, v9, v23
	v_sub_f16_e32 v6, v7, v6
	v_add_f16_e32 v7, v12, v20
	v_sub_f16_e32 v21, v44, v45
	v_sub_f16_e32 v8, v37, v8
	;; [unrolled: 1-line block ×5, first 2 shown]
	v_pk_add_f16 v13, v24, v18 neg_lo:[0,1] neg_hi:[0,1]
	v_pack_b32_f16 v7, v19, v7
	v_sub_f16_e32 v12, v12, v20
	ds_write2_b32 v49, v7, v13 offset0:4 offset1:5
	v_pack_b32_f16 v7, v8, v10
	v_pack_b32_f16 v8, v21, v23
	ds_write2_b32 v49, v8, v7 offset0:6 offset1:7
	v_pack_b32_f16 v7, v9, v12
	v_pack_b32_f16 v6, v11, v6
	ds_write2_b32 v49, v6, v7 offset0:8 offset1:9
	v_mul_lo_u16_sdwa v6, v0, s10 dst_sel:DWORD dst_unused:UNUSED_PAD src0_sel:BYTE_0 src1_sel:DWORD
	v_lshrrev_b16_e32 v23, 11, v6
	v_mul_lo_u16_e32 v6, 10, v23
	v_pk_add_f16 v50, v24, v18
	v_sub_u16_e32 v24, v0, v6
	v_mov_b32_e32 v6, 9
	v_mul_u32_u24_sdwa v6, v24, v6 dst_sel:DWORD dst_unused:UNUSED_PAD src0_sel:BYTE_0 src1_sel:DWORD
	v_lshlrev_b32_e32 v18, 2, v6
	ds_write2_b32 v49, v50, v48 offset1:1
	s_waitcnt lgkmcnt(0)
	s_barrier
	global_load_dwordx4 v[6:9], v18, s[8:9]
	global_load_dwordx4 v[10:13], v18, s[8:9] offset:16
	global_load_dword v25, v18, s[8:9] offset:32
	ds_read2_b32 v[18:19], v1 offset0:90 offset1:180
	ds_read_b32 v31, v1 offset:3240
	s_waitcnt lgkmcnt(1)
	v_lshrrev_b32_e32 v20, 16, v18
	s_waitcnt vmcnt(2)
	v_mul_f16_sdwa v21, v6, v18 dst_sel:DWORD dst_unused:UNUSED_PAD src0_sel:WORD_1 src1_sel:DWORD
	v_fma_f16 v26, v6, v20, -v21
	v_mul_f16_sdwa v20, v6, v20 dst_sel:DWORD dst_unused:UNUSED_PAD src0_sel:WORD_1 src1_sel:DWORD
	v_fma_f16 v18, v6, v18, v20
	ds_read2_b32 v[20:21], v4 offset0:14 offset1:104
	v_lshrrev_b32_e32 v6, 16, v19
	v_mul_f16_sdwa v27, v7, v6 dst_sel:DWORD dst_unused:UNUSED_PAD src0_sel:WORD_1 src1_sel:DWORD
	v_fma_f16 v27, v7, v19, v27
	v_mul_f16_sdwa v19, v7, v19 dst_sel:DWORD dst_unused:UNUSED_PAD src0_sel:WORD_1 src1_sel:DWORD
	v_fma_f16 v19, v7, v6, -v19
	s_waitcnt lgkmcnt(0)
	v_lshrrev_b32_e32 v6, 16, v20
	v_mul_f16_sdwa v7, v8, v20 dst_sel:DWORD dst_unused:UNUSED_PAD src0_sel:WORD_1 src1_sel:DWORD
	v_fma_f16 v28, v8, v6, -v7
	v_mul_f16_sdwa v6, v8, v6 dst_sel:DWORD dst_unused:UNUSED_PAD src0_sel:WORD_1 src1_sel:DWORD
	v_fma_f16 v20, v8, v20, v6
	ds_read2_b32 v[6:7], v5 offset0:66 offset1:156
	v_lshrrev_b32_e32 v8, 16, v21
	v_mul_f16_sdwa v29, v9, v8 dst_sel:DWORD dst_unused:UNUSED_PAD src0_sel:WORD_1 src1_sel:DWORD
	v_fma_f16 v29, v9, v21, v29
	v_mul_f16_sdwa v21, v9, v21 dst_sel:DWORD dst_unused:UNUSED_PAD src0_sel:WORD_1 src1_sel:DWORD
	v_fma_f16 v21, v9, v8, -v21
	s_waitcnt lgkmcnt(0)
	v_lshrrev_b32_e32 v8, 16, v6
	s_waitcnt vmcnt(1)
	v_mul_f16_sdwa v9, v10, v6 dst_sel:DWORD dst_unused:UNUSED_PAD src0_sel:WORD_1 src1_sel:DWORD
	v_fma_f16 v30, v10, v8, -v9
	v_mul_f16_sdwa v8, v10, v8 dst_sel:DWORD dst_unused:UNUSED_PAD src0_sel:WORD_1 src1_sel:DWORD
	v_fma_f16 v6, v10, v6, v8
	ds_read2_b32 v[8:9], v22 offset0:118 offset1:208
	v_lshrrev_b32_e32 v10, 16, v7
	v_mul_f16_sdwa v22, v10, v11 dst_sel:DWORD dst_unused:UNUSED_PAD src0_sel:DWORD src1_sel:WORD_1
	v_fma_f16 v22, v7, v11, v22
	v_mul_f16_sdwa v7, v7, v11 dst_sel:DWORD dst_unused:UNUSED_PAD src0_sel:DWORD src1_sel:WORD_1
	v_fma_f16 v7, v10, v11, -v7
	s_waitcnt lgkmcnt(0)
	v_lshrrev_b32_e32 v10, 16, v8
	v_mul_f16_sdwa v11, v8, v12 dst_sel:DWORD dst_unused:UNUSED_PAD src0_sel:DWORD src1_sel:WORD_1
	v_fma_f16 v11, v10, v12, -v11
	v_mul_f16_sdwa v10, v10, v12 dst_sel:DWORD dst_unused:UNUSED_PAD src0_sel:DWORD src1_sel:WORD_1
	v_fma_f16 v8, v8, v12, v10
	v_lshrrev_b32_e32 v10, 16, v9
	v_mul_f16_sdwa v12, v10, v13 dst_sel:DWORD dst_unused:UNUSED_PAD src0_sel:DWORD src1_sel:WORD_1
	v_fma_f16 v12, v9, v13, v12
	v_mul_f16_sdwa v9, v9, v13 dst_sel:DWORD dst_unused:UNUSED_PAD src0_sel:DWORD src1_sel:WORD_1
	v_fma_f16 v9, v10, v13, -v9
	ds_read_b32 v10, v16
	v_lshrrev_b32_e32 v13, 16, v31
	s_waitcnt vmcnt(0)
	v_mul_f16_sdwa v32, v13, v25 dst_sel:DWORD dst_unused:UNUSED_PAD src0_sel:DWORD src1_sel:WORD_1
	v_fma_f16 v32, v31, v25, v32
	v_mul_f16_sdwa v31, v31, v25 dst_sel:DWORD dst_unused:UNUSED_PAD src0_sel:DWORD src1_sel:WORD_1
	v_fma_f16 v13, v13, v25, -v31
	v_sub_f16_e32 v25, v27, v29
	v_sub_f16_e32 v31, v12, v22
	v_add_f16_e32 v25, v25, v31
	v_sub_f16_e32 v31, v19, v21
	v_sub_f16_e32 v33, v9, v7
	v_add_f16_e32 v31, v31, v33
	;; [unrolled: 3-line block ×4, first 2 shown]
	v_add_f16_e32 v34, v34, v35
	v_add_f16_e32 v35, v6, v8
	v_fma_f16 v39, v39, -0.5, v26
	v_sub_f16_e32 v40, v20, v32
	v_fma_f16 v35, v35, -0.5, v18
	v_sub_f16_e32 v36, v28, v13
	v_fma_f16 v41, v40, s4, v39
	v_sub_f16_e32 v42, v6, v8
	v_fma_f16 v37, v36, s1, v35
	;; [unrolled: 2-line block ×3, first 2 shown]
	v_fma_f16 v37, v38, s2, v37
	v_fma_f16 v41, v34, s3, v41
	;; [unrolled: 1-line block ×3, first 2 shown]
	v_mul_f16_e32 v43, 0xb8b4, v41
	v_mul_f16_e32 v41, 0x3a79, v41
	v_fma_f16 v43, v37, s7, v43
	v_fma_f16 v37, v37, s0, v41
	v_mov_b32_e32 v41, 2
	s_movk_i32 s7, 0x190
	v_lshlrev_b32_sdwa v24, v41, v24 dst_sel:DWORD dst_unused:UNUSED_PAD src0_sel:DWORD src1_sel:BYTE_0
	v_mad_u32_u24 v23, v23, s7, 0
	s_waitcnt lgkmcnt(0)
	v_lshrrev_b32_e32 v41, 16, v10
	v_add3_u32 v23, v23, v24, v15
	v_add_f16_e32 v24, v10, v27
	v_add_f16_e32 v44, v41, v19
	v_add_f16_e32 v45, v18, v20
	v_add_f16_e32 v46, v26, v28
	v_add_f16_e32 v24, v24, v29
	v_add_f16_e32 v44, v44, v21
	v_add_f16_e32 v45, v45, v6
	v_add_f16_e32 v46, v46, v30
	v_add_f16_e32 v24, v24, v22
	v_add_f16_e32 v44, v44, v7
	v_add_f16_e32 v45, v45, v8
	v_add_f16_e32 v46, v46, v11
	v_add_f16_e32 v24, v24, v12
	v_add_f16_e32 v44, v44, v9
	v_add_f16_e32 v45, v45, v32
	v_add_f16_e32 v46, v46, v13
	v_add_f16_e32 v47, v24, v45
	v_add_f16_e32 v48, v44, v46
	v_pack_b32_f16 v47, v47, v48
	v_add_f16_e32 v48, v29, v22
	v_add_f16_e32 v52, v21, v7
	v_fma_f16 v48, v48, -0.5, v10
	v_sub_f16_e32 v49, v19, v9
	v_fma_f16 v52, v52, -0.5, v41
	v_sub_f16_e32 v53, v27, v12
	v_fma_f16 v50, v49, s1, v48
	v_sub_f16_e32 v51, v21, v7
	v_fma_f16 v54, v53, s4, v52
	;; [unrolled: 2-line block ×3, first 2 shown]
	v_fma_f16 v54, v55, s0, v54
	v_fma_f16 v50, v25, s3, v50
	;; [unrolled: 1-line block ×3, first 2 shown]
	v_add_f16_e32 v56, v50, v43
	v_add_f16_e32 v57, v54, v37
	v_pack_b32_f16 v56, v56, v57
	s_barrier
	ds_write2_b32 v23, v47, v56 offset1:10
	v_add_f16_e32 v47, v27, v12
	v_fma_f16 v10, v47, -0.5, v10
	v_sub_f16_e32 v27, v29, v27
	v_sub_f16_e32 v12, v22, v12
	v_fma_f16 v22, v51, s4, v10
	v_fma_f16 v10, v51, s1, v10
	v_add_f16_e32 v12, v27, v12
	v_fma_f16 v22, v49, s2, v22
	v_fma_f16 v10, v49, s0, v10
	;; [unrolled: 1-line block ×4, first 2 shown]
	v_add_f16_e32 v12, v19, v9
	v_fma_f16 v12, v12, -0.5, v41
	v_sub_f16_e32 v19, v21, v19
	v_sub_f16_e32 v7, v7, v9
	v_fma_f16 v9, v55, s1, v12
	v_fma_f16 v12, v55, s4, v12
	v_add_f16_e32 v7, v19, v7
	v_fma_f16 v9, v53, s0, v9
	v_fma_f16 v12, v53, s2, v12
	;; [unrolled: 1-line block ×4, first 2 shown]
	v_add_f16_e32 v12, v20, v32
	v_fma_f16 v12, v12, -0.5, v18
	v_sub_f16_e32 v6, v6, v20
	v_sub_f16_e32 v8, v8, v32
	v_add_f16_e32 v6, v6, v8
	v_fma_f16 v8, v38, s4, v12
	v_fma_f16 v12, v38, s1, v12
	;; [unrolled: 1-line block ×6, first 2 shown]
	v_add_f16_e32 v12, v28, v13
	v_fma_f16 v12, v12, -0.5, v26
	v_sub_f16_e32 v18, v30, v28
	v_sub_f16_e32 v11, v11, v13
	v_fma_f16 v13, v42, s1, v12
	v_add_f16_e32 v11, v18, v11
	v_fma_f16 v13, v40, s0, v13
	v_fma_f16 v12, v42, s4, v12
	v_fma_f16 v13, v11, s3, v13
	v_fma_f16 v12, v40, s2, v12
	v_fma_f16 v11, v11, s3, v12
	v_mul_f16_e32 v12, 0xbb9c, v13
	v_mul_f16_e32 v13, 0x34f2, v13
	v_fma_f16 v12, v8, s3, v12
	v_fma_f16 v8, v8, s4, v13
	v_mul_f16_e32 v13, 0xbb9c, v11
	v_mul_f16_e32 v11, 0xb4f2, v11
	v_fma_f16 v13, v6, s5, v13
	v_fma_f16 v6, v6, s4, v11
	v_add_f16_e32 v11, v22, v12
	v_add_f16_e32 v18, v9, v8
	v_pack_b32_f16 v11, v11, v18
	v_add_f16_e32 v18, v10, v13
	v_add_f16_e32 v19, v7, v6
	v_fma_f16 v20, v40, s1, v39
	v_pack_b32_f16 v18, v18, v19
	v_fma_f16 v19, v36, s4, v35
	v_fma_f16 v20, v42, s2, v20
	ds_write2_b32 v23, v11, v18 offset0:20 offset1:30
	v_fma_f16 v11, v49, s4, v48
	v_fma_f16 v18, v53, s1, v52
	;; [unrolled: 1-line block ×7, first 2 shown]
	v_mul_f16_e32 v21, 0xb8b4, v20
	v_mul_f16_e32 v20, 0xba79, v20
	v_fma_f16 v11, v25, s3, v11
	v_fma_f16 v18, v31, s3, v18
	;; [unrolled: 1-line block ×4, first 2 shown]
	v_sub_f16_e32 v25, v24, v45
	v_sub_f16_e32 v10, v10, v13
	v_add_f16_e32 v13, v11, v21
	v_sub_f16_e32 v20, v11, v21
	v_sub_f16_e32 v11, v44, v46
	;; [unrolled: 1-line block ×3, first 2 shown]
	v_add_f16_e32 v7, v18, v19
	v_sub_f16_e32 v26, v50, v43
	v_sub_f16_e32 v12, v22, v12
	;; [unrolled: 1-line block ×4, first 2 shown]
	v_pack_b32_f16 v7, v13, v7
	v_pack_b32_f16 v9, v25, v11
	v_sub_f16_e32 v24, v18, v19
	ds_write2_b32 v23, v7, v9 offset0:40 offset1:50
	v_pack_b32_f16 v7, v26, v21
	v_pack_b32_f16 v8, v12, v8
	ds_write2_b32 v23, v7, v8 offset0:60 offset1:70
	v_pack_b32_f16 v6, v10, v6
	v_pack_b32_f16 v7, v20, v24
	ds_write2_b32 v23, v6, v7 offset0:80 offset1:90
	s_waitcnt lgkmcnt(0)
	s_barrier
	ds_read_b32 v19, v16
	ds_read2_b32 v[12:13], v4 offset0:44 offset1:134
	ds_read2_b32 v[8:9], v5 offset0:96 offset1:216
	ds_read2_b32 v[6:7], v1 offset0:90 offset1:180
	v_add_u32_e32 v4, 0xa00, v1
	ds_read2_b32 v[10:11], v4 offset0:50 offset1:140
	v_cmp_gt_u32_e64 s[0:1], 30, v0
                                        ; implicit-def: $vgpr23
                                        ; implicit-def: $vgpr22
                                        ; implicit-def: $vgpr27
                                        ; implicit-def: $vgpr25
	s_and_saveexec_b64 s[2:3], s[0:1]
	s_cbranch_execz .LBB0_19
; %bb.18:
	ds_read_b32 v20, v1 offset:1080
	ds_read_b32 v22, v1 offset:3480
	;; [unrolled: 1-line block ×3, first 2 shown]
	s_waitcnt lgkmcnt(2)
	v_lshrrev_b32_e32 v24, 16, v20
	s_waitcnt lgkmcnt(1)
	v_lshrrev_b32_e32 v23, 16, v22
	;; [unrolled: 2-line block ×3, first 2 shown]
.LBB0_19:
	s_or_b64 exec, exec, s[2:3]
	v_lshlrev_b32_e32 v28, 1, v0
	v_mov_b32_e32 v29, 0
	v_lshlrev_b64 v[4:5], 2, v[28:29]
	v_mov_b32_e32 v18, s9
	v_add_co_u32_e64 v4, s[2:3], s8, v4
	v_addc_co_u32_e64 v5, s[2:3], v18, v5, s[2:3]
	v_add_u32_e32 v21, 0x5a, v0
	v_add_u32_e32 v26, -10, v0
	v_cmp_gt_u32_e64 s[2:3], 10, v0
	v_cndmask_b32_e64 v38, v26, v21, s[2:3]
	v_lshlrev_b32_e32 v28, 1, v38
	v_lshlrev_b64 v[28:29], 2, v[28:29]
	v_add_u32_e32 v26, 0xb4, v0
	v_add_co_u32_e64 v28, s[2:3], s8, v28
	v_addc_co_u32_e64 v29, s[2:3], v18, v29, s[2:3]
	global_load_dwordx2 v[30:31], v[4:5], off offset:360
	global_load_dwordx2 v[32:33], v[28:29], off offset:360
	v_lshrrev_b16_e32 v28, 2, v26
	v_mul_u32_u24_e32 v28, 0x147b, v28
	v_lshrrev_b32_e32 v29, 17, v28
	v_add_u32_e32 v18, 0x10e, v0
	v_mul_lo_u16_e32 v28, 0x64, v29
	v_sub_u16_e32 v39, v26, v28
	v_lshrrev_b16_e32 v34, 2, v18
	v_lshlrev_b32_e32 v28, 3, v39
	v_mul_u32_u24_e32 v34, 0x147b, v34
	v_lshrrev_b32_e32 v36, 17, v34
	global_load_dwordx2 v[34:35], v28, s[8:9] offset:360
	v_mul_lo_u16_e32 v28, 0x64, v36
	v_sub_u16_e32 v28, v18, v28
	v_lshlrev_b32_e32 v36, 3, v28
	global_load_dwordx2 v[36:37], v36, s[8:9] offset:360
	s_waitcnt lgkmcnt(3)
	v_lshrrev_b32_e32 v43, 16, v12
	s_waitcnt lgkmcnt(2)
	v_lshrrev_b32_e32 v44, 16, v9
	v_lshrrev_b32_e32 v45, 16, v13
	;; [unrolled: 1-line block ×4, first 2 shown]
	s_waitcnt lgkmcnt(0)
	v_lshrrev_b32_e32 v46, 16, v10
	s_mov_b32 s2, 0xbaee
	s_movk_i32 s3, 0x3aee
	v_lshrrev_b32_e32 v41, 16, v6
	v_lshrrev_b32_e32 v48, 16, v11
	;; [unrolled: 1-line block ×3, first 2 shown]
	s_waitcnt vmcnt(0)
	s_barrier
	s_movk_i32 s4, 0x4b0
	v_mul_f16_sdwa v49, v30, v43 dst_sel:DWORD dst_unused:UNUSED_PAD src0_sel:WORD_1 src1_sel:DWORD
	v_mul_f16_sdwa v51, v31, v44 dst_sel:DWORD dst_unused:UNUSED_PAD src0_sel:WORD_1 src1_sel:DWORD
	;; [unrolled: 1-line block ×4, first 2 shown]
	v_fma_f16 v12, v30, v12, v49
	v_fma_f16 v9, v31, v9, v51
	v_fma_f16 v30, v30, v43, -v50
	v_fma_f16 v31, v31, v44, -v52
	v_mul_f16_sdwa v43, v32, v45 dst_sel:DWORD dst_unused:UNUSED_PAD src0_sel:WORD_1 src1_sel:DWORD
	v_mul_f16_sdwa v44, v32, v13 dst_sel:DWORD dst_unused:UNUSED_PAD src0_sel:WORD_1 src1_sel:DWORD
	v_add_f16_e32 v52, v12, v9
	v_add_f16_e32 v51, v19, v12
	v_sub_f16_e32 v53, v30, v31
	v_add_f16_e32 v54, v40, v30
	v_add_f16_e32 v30, v30, v31
	v_fma_f16 v13, v32, v13, v43
	v_fma_f16 v32, v32, v45, -v44
	v_mul_f16_sdwa v43, v34, v47 dst_sel:DWORD dst_unused:UNUSED_PAD src0_sel:WORD_1 src1_sel:DWORD
	v_mul_f16_sdwa v44, v34, v8 dst_sel:DWORD dst_unused:UNUSED_PAD src0_sel:WORD_1 src1_sel:DWORD
	v_fma_f16 v19, v52, -0.5, v19
	v_mul_f16_sdwa v49, v33, v46 dst_sel:DWORD dst_unused:UNUSED_PAD src0_sel:WORD_1 src1_sel:DWORD
	v_add_f16_e32 v51, v51, v9
	v_fma_f16 v8, v34, v8, v43
	v_fma_f16 v34, v34, v47, -v44
	v_fma_f16 v43, v53, s2, v19
	v_fma_f16 v44, v53, s3, v19
	v_fma_f16 v19, v30, -0.5, v40
	v_sub_f16_e32 v9, v12, v9
	v_mul_f16_sdwa v50, v33, v10 dst_sel:DWORD dst_unused:UNUSED_PAD src0_sel:WORD_1 src1_sel:DWORD
	v_fma_f16 v10, v33, v10, v49
	v_fma_f16 v12, v9, s3, v19
	;; [unrolled: 1-line block ×3, first 2 shown]
	v_add_f16_e32 v19, v6, v13
	v_fma_f16 v33, v33, v46, -v50
	v_add_f16_e32 v30, v19, v10
	v_add_f16_e32 v19, v13, v10
	v_fma_f16 v6, v19, -0.5, v6
	v_sub_f16_e32 v19, v32, v33
	v_mul_f16_sdwa v45, v35, v48 dst_sel:DWORD dst_unused:UNUSED_PAD src0_sel:WORD_1 src1_sel:DWORD
	v_fma_f16 v40, v19, s2, v6
	v_fma_f16 v6, v19, s3, v6
	v_add_f16_e32 v19, v41, v32
	v_mul_f16_sdwa v46, v35, v11 dst_sel:DWORD dst_unused:UNUSED_PAD src0_sel:WORD_1 src1_sel:DWORD
	v_fma_f16 v11, v35, v11, v45
	v_add_f16_e32 v45, v19, v33
	v_add_f16_e32 v19, v32, v33
	v_fma_f16 v19, v19, -0.5, v41
	v_sub_f16_e32 v10, v13, v10
	v_fma_f16 v13, v10, s3, v19
	v_fma_f16 v10, v10, s2, v19
	v_add_f16_e32 v19, v7, v8
	v_fma_f16 v35, v35, v48, -v46
	v_add_f16_e32 v32, v19, v11
	v_add_f16_e32 v19, v8, v11
	v_fma_f16 v7, v19, -0.5, v7
	v_sub_f16_e32 v19, v34, v35
	v_mul_f16_sdwa v49, v27, v36 dst_sel:DWORD dst_unused:UNUSED_PAD src0_sel:DWORD src1_sel:WORD_1
	v_mul_f16_sdwa v50, v25, v36 dst_sel:DWORD dst_unused:UNUSED_PAD src0_sel:DWORD src1_sel:WORD_1
	v_mul_f16_sdwa v55, v23, v37 dst_sel:DWORD dst_unused:UNUSED_PAD src0_sel:DWORD src1_sel:WORD_1
	v_fma_f16 v33, v19, s2, v7
	v_fma_f16 v7, v19, s3, v7
	v_add_f16_e32 v19, v42, v34
	v_mul_f16_sdwa v56, v22, v37 dst_sel:DWORD dst_unused:UNUSED_PAD src0_sel:DWORD src1_sel:WORD_1
	v_fma_f16 v25, v25, v36, v49
	v_fma_f16 v27, v27, v36, -v50
	v_fma_f16 v36, v22, v37, v55
	v_add_f16_e32 v41, v19, v35
	v_add_f16_e32 v19, v34, v35
	v_fma_f16 v37, v23, v37, -v56
	v_fma_f16 v19, v19, -0.5, v42
	v_sub_f16_e32 v8, v8, v11
	v_add_f16_e32 v22, v25, v36
	v_fma_f16 v11, v8, s3, v19
	v_fma_f16 v8, v8, s2, v19
	v_add_f16_e32 v19, v20, v25
	v_fma_f16 v20, v22, -0.5, v20
	v_sub_f16_e32 v22, v27, v37
	v_fma_f16 v23, v22, s2, v20
	v_fma_f16 v22, v22, s3, v20
	v_add_f16_e32 v20, v24, v27
	v_add_f16_e32 v27, v27, v37
	v_fma_f16 v24, v27, -0.5, v24
	v_sub_f16_e32 v27, v25, v36
	v_pack_b32_f16 v9, v44, v9
	v_add_f16_e32 v31, v54, v31
	v_fma_f16 v25, v27, s3, v24
	v_fma_f16 v24, v27, s2, v24
	ds_write_b32 v1, v9 offset:800
	v_mov_b32_e32 v9, 0x4b0
	v_cmp_lt_u32_e64 s[2:3], 9, v0
	v_pack_b32_f16 v27, v51, v31
	v_pack_b32_f16 v12, v43, v12
	v_cndmask_b32_e64 v9, 0, v9, s[2:3]
	ds_write2_b32 v1, v27, v12 offset1:100
	v_add_u32_e32 v9, 0, v9
	v_lshlrev_b32_e32 v12, 2, v38
	v_add3_u32 v9, v9, v12, v15
	v_pack_b32_f16 v12, v30, v45
	v_pack_b32_f16 v13, v40, v13
	;; [unrolled: 1-line block ×3, first 2 shown]
	ds_write2_b32 v9, v12, v13 offset1:100
	ds_write_b32 v9, v6 offset:800
	v_mad_u32_u24 v6, v29, s4, 0
	v_lshlrev_b32_e32 v9, 2, v39
	v_add_f16_e32 v19, v19, v36
	v_add_f16_e32 v20, v20, v37
	v_add3_u32 v6, v6, v9, v15
	v_pack_b32_f16 v9, v32, v41
	v_pack_b32_f16 v10, v33, v11
	;; [unrolled: 1-line block ×3, first 2 shown]
	ds_write2_b32 v6, v9, v10 offset1:100
	ds_write_b32 v6, v7 offset:800
	s_and_saveexec_b64 s[2:3], s[0:1]
	s_cbranch_execz .LBB0_21
; %bb.20:
	v_lshlrev_b32_e32 v6, 2, v28
	v_add3_u32 v6, 0, v6, v15
	s_mov_b32 s4, 0x5040100
	v_perm_b32 v7, v20, v19, s4
	v_perm_b32 v8, v25, v23, s4
	v_add_u32_e32 v9, 0x800, v6
	ds_write2_b32 v9, v7, v8 offset0:88 offset1:188
	v_perm_b32 v7, v24, v22, s4
	ds_write_b32 v6, v7 offset:3200
.LBB0_21:
	s_or_b64 exec, exec, s[2:3]
	v_add_u32_e32 v6, 0x400, v1
	s_waitcnt lgkmcnt(0)
	s_barrier
	ds_read2_b32 v[12:13], v6 offset0:44 offset1:134
	v_add_u32_e32 v6, 0x600, v1
	v_add_u32_e32 v10, 0xa00, v1
	ds_read_b32 v16, v16
	ds_read2_b32 v[8:9], v6 offset0:96 offset1:216
	ds_read2_b32 v[6:7], v1 offset0:90 offset1:180
	ds_read2_b32 v[10:11], v10 offset0:50 offset1:140
	v_mul_i32_i24_e32 v27, 0xffffffdc, v0
	s_and_saveexec_b64 s[2:3], s[0:1]
	s_cbranch_execz .LBB0_23
; %bb.22:
	ds_read_b32 v19, v1 offset:1080
	ds_read_b32 v22, v1 offset:3480
	;; [unrolled: 1-line block ×3, first 2 shown]
	s_waitcnt lgkmcnt(2)
	v_lshrrev_b32_e32 v20, 16, v19
	s_waitcnt lgkmcnt(1)
	v_lshrrev_b32_e32 v24, 16, v22
	s_waitcnt lgkmcnt(0)
	v_lshrrev_b32_e32 v25, 16, v23
.LBB0_23:
	s_or_b64 exec, exec, s[2:3]
	global_load_dwordx2 v[28:29], v[4:5], off offset:1160
	v_lshlrev_b32_e32 v4, 1, v21
	v_mov_b32_e32 v5, 0
	v_lshlrev_b64 v[30:31], 2, v[4:5]
	v_lshlrev_b32_e32 v4, 1, v26
	v_mov_b32_e32 v21, s9
	v_add_co_u32_e64 v30, s[2:3], s8, v30
	v_lshlrev_b64 v[32:33], 2, v[4:5]
	v_addc_co_u32_e64 v31, s[2:3], v21, v31, s[2:3]
	v_add_co_u32_e64 v32, s[2:3], s8, v32
	global_load_dwordx2 v[30:31], v[30:31], off offset:1160
	v_addc_co_u32_e64 v33, s[2:3], v21, v33, s[2:3]
	global_load_dwordx2 v[32:33], v[32:33], off offset:1160
	s_waitcnt lgkmcnt(2)
	v_lshrrev_b32_e32 v36, 16, v9
	v_lshrrev_b32_e32 v37, 16, v12
	;; [unrolled: 1-line block ×3, first 2 shown]
	s_waitcnt lgkmcnt(0)
	v_lshrrev_b32_e32 v34, 16, v10
	v_lshrrev_b32_e32 v35, 16, v13
	v_add3_u32 v15, v17, v27, v15
	v_lshrrev_b32_e32 v17, 16, v11
	v_lshrrev_b32_e32 v27, 16, v8
	s_mov_b32 s4, 0xbaee
	s_movk_i32 s5, 0x3aee
	v_lshrrev_b32_e32 v21, 16, v6
	v_lshrrev_b32_e32 v26, 16, v7
	s_waitcnt vmcnt(0)
	s_barrier
	v_mul_f16_sdwa v38, v28, v37 dst_sel:DWORD dst_unused:UNUSED_PAD src0_sel:WORD_1 src1_sel:DWORD
	v_mul_f16_sdwa v39, v28, v12 dst_sel:DWORD dst_unused:UNUSED_PAD src0_sel:WORD_1 src1_sel:DWORD
	;; [unrolled: 1-line block ×4, first 2 shown]
	v_fma_f16 v12, v28, v12, v38
	v_fma_f16 v28, v28, v37, -v39
	v_fma_f16 v9, v29, v9, v40
	v_fma_f16 v29, v29, v36, -v41
	v_add_f16_e32 v36, v16, v12
	v_add_f16_e32 v37, v12, v9
	v_sub_f16_e32 v38, v28, v29
	v_add_f16_e32 v39, v4, v28
	v_add_f16_e32 v28, v28, v29
	v_sub_f16_e32 v12, v12, v9
	v_add_f16_e32 v9, v36, v9
	v_fma_f16 v16, v37, -0.5, v16
	v_add_f16_e32 v29, v39, v29
	v_fma_f16 v4, v28, -0.5, v4
	v_mul_f16_sdwa v28, v30, v35 dst_sel:DWORD dst_unused:UNUSED_PAD src0_sel:WORD_1 src1_sel:DWORD
	v_mul_f16_sdwa v36, v30, v13 dst_sel:DWORD dst_unused:UNUSED_PAD src0_sel:WORD_1 src1_sel:DWORD
	;; [unrolled: 1-line block ×4, first 2 shown]
	v_fma_f16 v40, v38, s4, v16
	v_fma_f16 v16, v38, s5, v16
	;; [unrolled: 1-line block ×5, first 2 shown]
	v_fma_f16 v13, v30, v35, -v36
	v_fma_f16 v10, v31, v10, v37
	v_fma_f16 v28, v31, v34, -v39
	v_mul_f16_sdwa v30, v32, v27 dst_sel:DWORD dst_unused:UNUSED_PAD src0_sel:WORD_1 src1_sel:DWORD
	v_mul_f16_sdwa v31, v32, v8 dst_sel:DWORD dst_unused:UNUSED_PAD src0_sel:WORD_1 src1_sel:DWORD
	;; [unrolled: 1-line block ×4, first 2 shown]
	v_fma_f16 v8, v32, v8, v30
	v_fma_f16 v27, v32, v27, -v31
	v_fma_f16 v11, v33, v11, v34
	v_fma_f16 v17, v33, v17, -v35
	v_add_f16_e32 v31, v12, v10
	v_sub_f16_e32 v32, v13, v28
	v_add_f16_e32 v33, v21, v13
	v_add_f16_e32 v13, v13, v28
	v_add_f16_e32 v30, v6, v12
	v_sub_f16_e32 v12, v12, v10
	v_fma_f16 v6, v31, -0.5, v6
	v_add_f16_e32 v28, v33, v28
	v_fma_f16 v13, v13, -0.5, v21
	v_add_f16_e32 v21, v7, v8
	v_add_f16_e32 v33, v26, v27
	v_sub_f16_e32 v31, v27, v17
	v_fma_f16 v34, v32, s4, v6
	v_fma_f16 v6, v32, s5, v6
	;; [unrolled: 1-line block ×4, first 2 shown]
	v_add_f16_e32 v13, v21, v11
	v_add_f16_e32 v21, v33, v17
	;; [unrolled: 1-line block ×5, first 2 shown]
	v_fma_f16 v17, v17, -0.5, v26
	v_sub_f16_e32 v8, v8, v11
	v_pack_b32_f16 v4, v16, v4
	v_fma_f16 v11, v8, s5, v17
	v_fma_f16 v8, v8, s4, v17
	v_pack_b32_f16 v9, v9, v29
	v_pack_b32_f16 v17, v40, v38
	ds_write_b32 v1, v4 offset:2400
	v_pack_b32_f16 v4, v10, v28
	v_fma_f16 v7, v30, -0.5, v7
	ds_write_b32 v1, v17 offset:1200
	ds_write2_b32 v1, v9, v4 offset1:90
	ds_write_b16 v15, v34 offset:1560
	ds_write_b16 v15, v32 offset:1562
	;; [unrolled: 1-line block ×4, first 2 shown]
	v_pack_b32_f16 v4, v13, v21
	v_fma_f16 v30, v31, s4, v7
	v_fma_f16 v7, v31, s5, v7
	ds_write_b32 v1, v4 offset:720
	ds_write_b16 v15, v30 offset:1920
	ds_write_b16 v15, v11 offset:1922
	;; [unrolled: 1-line block ×4, first 2 shown]
	s_and_saveexec_b64 s[2:3], s[0:1]
	s_cbranch_execz .LBB0_25
; %bb.24:
	v_subrev_u32_e32 v4, 30, v0
	v_cndmask_b32_e64 v4, v4, v18, s[0:1]
	v_lshlrev_b32_e32 v4, 1, v4
	v_lshlrev_b64 v[4:5], 2, v[4:5]
	v_mov_b32_e32 v6, s9
	v_add_co_u32_e64 v4, s[0:1], s8, v4
	v_addc_co_u32_e64 v5, s[0:1], v6, v5, s[0:1]
	global_load_dwordx2 v[4:5], v[4:5], off offset:1160
	s_waitcnt vmcnt(0)
	v_mul_f16_sdwa v6, v23, v4 dst_sel:DWORD dst_unused:UNUSED_PAD src0_sel:DWORD src1_sel:WORD_1
	v_mul_f16_sdwa v7, v22, v5 dst_sel:DWORD dst_unused:UNUSED_PAD src0_sel:DWORD src1_sel:WORD_1
	;; [unrolled: 1-line block ×4, first 2 shown]
	v_fma_f16 v6, v25, v4, -v6
	v_fma_f16 v7, v24, v5, -v7
	v_fma_f16 v4, v23, v4, v8
	v_fma_f16 v5, v22, v5, v9
	v_add_f16_e32 v8, v6, v7
	v_sub_f16_e32 v9, v4, v5
	v_add_f16_e32 v10, v20, v6
	v_add_f16_e32 v11, v4, v5
	;; [unrolled: 1-line block ×3, first 2 shown]
	v_sub_f16_e32 v6, v6, v7
	v_fma_f16 v8, v8, -0.5, v20
	v_add_f16_e32 v7, v10, v7
	v_fma_f16 v10, v11, -0.5, v19
	v_add_f16_e32 v4, v4, v5
	v_fma_f16 v5, v9, s4, v8
	v_fma_f16 v8, v9, s5, v8
	;; [unrolled: 1-line block ×4, first 2 shown]
	v_pack_b32_f16 v4, v4, v7
	ds_write_b32 v1, v4 offset:1080
	v_pack_b32_f16 v4, v6, v8
	v_pack_b32_f16 v5, v9, v5
	ds_write_b32 v1, v4 offset:2280
	ds_write_b32 v1, v5 offset:3480
.LBB0_25:
	s_or_b64 exec, exec, s[2:3]
	s_waitcnt lgkmcnt(0)
	s_barrier
	s_and_saveexec_b64 s[0:1], vcc
	s_cbranch_execz .LBB0_27
; %bb.26:
	v_lshl_add_u32 v6, v0, 2, v14
	v_mov_b32_e32 v1, 0
	ds_read2_b32 v[4:5], v6 offset1:90
	v_mov_b32_e32 v7, s13
	v_add_co_u32_e32 v8, vcc, s12, v2
	v_addc_co_u32_e32 v7, vcc, v7, v3, vcc
	v_lshlrev_b64 v[2:3], 2, v[0:1]
	v_add_co_u32_e32 v2, vcc, v8, v2
	v_addc_co_u32_e32 v3, vcc, v7, v3, vcc
	s_waitcnt lgkmcnt(0)
	global_store_dword v[2:3], v4, off
	v_add_u32_e32 v2, 0x5a, v0
	v_mov_b32_e32 v3, v1
	v_lshlrev_b64 v[2:3], 2, v[2:3]
	v_add_u32_e32 v4, 0x200, v6
	v_add_co_u32_e32 v2, vcc, v8, v2
	v_addc_co_u32_e32 v3, vcc, v7, v3, vcc
	global_store_dword v[2:3], v5, off
	v_add_u32_e32 v2, 0xb4, v0
	v_mov_b32_e32 v3, v1
	ds_read2_b32 v[4:5], v4 offset0:52 offset1:142
	v_lshlrev_b64 v[2:3], 2, v[2:3]
	v_add_co_u32_e32 v2, vcc, v8, v2
	v_addc_co_u32_e32 v3, vcc, v7, v3, vcc
	s_waitcnt lgkmcnt(0)
	global_store_dword v[2:3], v4, off
	v_add_u32_e32 v2, 0x10e, v0
	v_mov_b32_e32 v3, v1
	v_lshlrev_b64 v[2:3], 2, v[2:3]
	v_add_u32_e32 v4, 0x400, v6
	v_add_co_u32_e32 v2, vcc, v8, v2
	v_addc_co_u32_e32 v3, vcc, v7, v3, vcc
	global_store_dword v[2:3], v5, off
	v_add_u32_e32 v2, 0x168, v0
	v_mov_b32_e32 v3, v1
	ds_read2_b32 v[4:5], v4 offset0:104 offset1:194
	v_lshlrev_b64 v[2:3], 2, v[2:3]
	v_add_co_u32_e32 v2, vcc, v8, v2
	v_addc_co_u32_e32 v3, vcc, v7, v3, vcc
	s_waitcnt lgkmcnt(0)
	global_store_dword v[2:3], v4, off
	v_add_u32_e32 v2, 0x1c2, v0
	v_mov_b32_e32 v3, v1
	v_lshlrev_b64 v[2:3], 2, v[2:3]
	v_add_u32_e32 v4, 0x800, v6
	v_add_co_u32_e32 v2, vcc, v8, v2
	v_addc_co_u32_e32 v3, vcc, v7, v3, vcc
	global_store_dword v[2:3], v5, off
	v_add_u32_e32 v2, 0x21c, v0
	v_mov_b32_e32 v3, v1
	ds_read2_b32 v[4:5], v4 offset0:28 offset1:118
	v_lshlrev_b64 v[2:3], 2, v[2:3]
	v_add_co_u32_e32 v2, vcc, v8, v2
	v_addc_co_u32_e32 v3, vcc, v7, v3, vcc
	s_waitcnt lgkmcnt(0)
	global_store_dword v[2:3], v4, off
	v_add_u32_e32 v2, 0x276, v0
	v_mov_b32_e32 v3, v1
	v_lshlrev_b64 v[2:3], 2, v[2:3]
	v_add_u32_e32 v4, 0xa00, v6
	v_add_co_u32_e32 v2, vcc, v8, v2
	v_addc_co_u32_e32 v3, vcc, v7, v3, vcc
	global_store_dword v[2:3], v5, off
	v_add_u32_e32 v2, 0x2d0, v0
	v_mov_b32_e32 v3, v1
	v_lshlrev_b64 v[2:3], 2, v[2:3]
	ds_read2_b32 v[4:5], v4 offset0:80 offset1:170
	v_add_u32_e32 v0, 0x32a, v0
	v_add_co_u32_e32 v2, vcc, v8, v2
	v_lshlrev_b64 v[0:1], 2, v[0:1]
	v_addc_co_u32_e32 v3, vcc, v7, v3, vcc
	v_add_co_u32_e32 v0, vcc, v8, v0
	v_addc_co_u32_e32 v1, vcc, v7, v1, vcc
	s_waitcnt lgkmcnt(0)
	global_store_dword v[2:3], v4, off
	global_store_dword v[0:1], v5, off
.LBB0_27:
	s_endpgm
	.section	.rodata,"a",@progbits
	.p2align	6, 0x0
	.amdhsa_kernel fft_rtc_back_len900_factors_10_10_3_3_wgs_180_tpt_90_halfLds_half_ip_CI_unitstride_sbrr_C2R_dirReg
		.amdhsa_group_segment_fixed_size 0
		.amdhsa_private_segment_fixed_size 0
		.amdhsa_kernarg_size 88
		.amdhsa_user_sgpr_count 6
		.amdhsa_user_sgpr_private_segment_buffer 1
		.amdhsa_user_sgpr_dispatch_ptr 0
		.amdhsa_user_sgpr_queue_ptr 0
		.amdhsa_user_sgpr_kernarg_segment_ptr 1
		.amdhsa_user_sgpr_dispatch_id 0
		.amdhsa_user_sgpr_flat_scratch_init 0
		.amdhsa_user_sgpr_private_segment_size 0
		.amdhsa_uses_dynamic_stack 0
		.amdhsa_system_sgpr_private_segment_wavefront_offset 0
		.amdhsa_system_sgpr_workgroup_id_x 1
		.amdhsa_system_sgpr_workgroup_id_y 0
		.amdhsa_system_sgpr_workgroup_id_z 0
		.amdhsa_system_sgpr_workgroup_info 0
		.amdhsa_system_vgpr_workitem_id 0
		.amdhsa_next_free_vgpr 58
		.amdhsa_next_free_sgpr 22
		.amdhsa_reserve_vcc 1
		.amdhsa_reserve_flat_scratch 0
		.amdhsa_float_round_mode_32 0
		.amdhsa_float_round_mode_16_64 0
		.amdhsa_float_denorm_mode_32 3
		.amdhsa_float_denorm_mode_16_64 3
		.amdhsa_dx10_clamp 1
		.amdhsa_ieee_mode 1
		.amdhsa_fp16_overflow 0
		.amdhsa_exception_fp_ieee_invalid_op 0
		.amdhsa_exception_fp_denorm_src 0
		.amdhsa_exception_fp_ieee_div_zero 0
		.amdhsa_exception_fp_ieee_overflow 0
		.amdhsa_exception_fp_ieee_underflow 0
		.amdhsa_exception_fp_ieee_inexact 0
		.amdhsa_exception_int_div_zero 0
	.end_amdhsa_kernel
	.text
.Lfunc_end0:
	.size	fft_rtc_back_len900_factors_10_10_3_3_wgs_180_tpt_90_halfLds_half_ip_CI_unitstride_sbrr_C2R_dirReg, .Lfunc_end0-fft_rtc_back_len900_factors_10_10_3_3_wgs_180_tpt_90_halfLds_half_ip_CI_unitstride_sbrr_C2R_dirReg
                                        ; -- End function
	.section	.AMDGPU.csdata,"",@progbits
; Kernel info:
; codeLenInByte = 8012
; NumSgprs: 26
; NumVgprs: 58
; ScratchSize: 0
; MemoryBound: 0
; FloatMode: 240
; IeeeMode: 1
; LDSByteSize: 0 bytes/workgroup (compile time only)
; SGPRBlocks: 3
; VGPRBlocks: 14
; NumSGPRsForWavesPerEU: 26
; NumVGPRsForWavesPerEU: 58
; Occupancy: 4
; WaveLimiterHint : 1
; COMPUTE_PGM_RSRC2:SCRATCH_EN: 0
; COMPUTE_PGM_RSRC2:USER_SGPR: 6
; COMPUTE_PGM_RSRC2:TRAP_HANDLER: 0
; COMPUTE_PGM_RSRC2:TGID_X_EN: 1
; COMPUTE_PGM_RSRC2:TGID_Y_EN: 0
; COMPUTE_PGM_RSRC2:TGID_Z_EN: 0
; COMPUTE_PGM_RSRC2:TIDIG_COMP_CNT: 0
	.type	__hip_cuid_731de22fb79fb01e,@object ; @__hip_cuid_731de22fb79fb01e
	.section	.bss,"aw",@nobits
	.globl	__hip_cuid_731de22fb79fb01e
__hip_cuid_731de22fb79fb01e:
	.byte	0                               ; 0x0
	.size	__hip_cuid_731de22fb79fb01e, 1

	.ident	"AMD clang version 19.0.0git (https://github.com/RadeonOpenCompute/llvm-project roc-6.4.0 25133 c7fe45cf4b819c5991fe208aaa96edf142730f1d)"
	.section	".note.GNU-stack","",@progbits
	.addrsig
	.addrsig_sym __hip_cuid_731de22fb79fb01e
	.amdgpu_metadata
---
amdhsa.kernels:
  - .args:
      - .actual_access:  read_only
        .address_space:  global
        .offset:         0
        .size:           8
        .value_kind:     global_buffer
      - .offset:         8
        .size:           8
        .value_kind:     by_value
      - .actual_access:  read_only
        .address_space:  global
        .offset:         16
        .size:           8
        .value_kind:     global_buffer
      - .actual_access:  read_only
        .address_space:  global
        .offset:         24
        .size:           8
        .value_kind:     global_buffer
      - .offset:         32
        .size:           8
        .value_kind:     by_value
      - .actual_access:  read_only
        .address_space:  global
        .offset:         40
        .size:           8
        .value_kind:     global_buffer
      - .actual_access:  read_only
        .address_space:  global
        .offset:         48
        .size:           8
        .value_kind:     global_buffer
      - .offset:         56
        .size:           4
        .value_kind:     by_value
      - .actual_access:  read_only
        .address_space:  global
        .offset:         64
        .size:           8
        .value_kind:     global_buffer
      - .actual_access:  read_only
        .address_space:  global
        .offset:         72
        .size:           8
        .value_kind:     global_buffer
      - .address_space:  global
        .offset:         80
        .size:           8
        .value_kind:     global_buffer
    .group_segment_fixed_size: 0
    .kernarg_segment_align: 8
    .kernarg_segment_size: 88
    .language:       OpenCL C
    .language_version:
      - 2
      - 0
    .max_flat_workgroup_size: 180
    .name:           fft_rtc_back_len900_factors_10_10_3_3_wgs_180_tpt_90_halfLds_half_ip_CI_unitstride_sbrr_C2R_dirReg
    .private_segment_fixed_size: 0
    .sgpr_count:     26
    .sgpr_spill_count: 0
    .symbol:         fft_rtc_back_len900_factors_10_10_3_3_wgs_180_tpt_90_halfLds_half_ip_CI_unitstride_sbrr_C2R_dirReg.kd
    .uniform_work_group_size: 1
    .uses_dynamic_stack: false
    .vgpr_count:     58
    .vgpr_spill_count: 0
    .wavefront_size: 64
amdhsa.target:   amdgcn-amd-amdhsa--gfx906
amdhsa.version:
  - 1
  - 2
...

	.end_amdgpu_metadata
